;; amdgpu-corpus repo=ROCm/rocFFT kind=compiled arch=gfx906 opt=O3
	.text
	.amdgcn_target "amdgcn-amd-amdhsa--gfx906"
	.amdhsa_code_object_version 6
	.protected	fft_rtc_back_len50_factors_10_5_wgs_125_tpt_5_halfLds_dim1_dp_op_CI_CI_unitstride_sbrr_R2C_dirReg ; -- Begin function fft_rtc_back_len50_factors_10_5_wgs_125_tpt_5_halfLds_dim1_dp_op_CI_CI_unitstride_sbrr_R2C_dirReg
	.globl	fft_rtc_back_len50_factors_10_5_wgs_125_tpt_5_halfLds_dim1_dp_op_CI_CI_unitstride_sbrr_R2C_dirReg
	.p2align	8
	.type	fft_rtc_back_len50_factors_10_5_wgs_125_tpt_5_halfLds_dim1_dp_op_CI_CI_unitstride_sbrr_R2C_dirReg,@function
fft_rtc_back_len50_factors_10_5_wgs_125_tpt_5_halfLds_dim1_dp_op_CI_CI_unitstride_sbrr_R2C_dirReg: ; @fft_rtc_back_len50_factors_10_5_wgs_125_tpt_5_halfLds_dim1_dp_op_CI_CI_unitstride_sbrr_R2C_dirReg
; %bb.0:
	v_mul_u32_u24_e32 v1, 0x3334, v0
	v_lshrrev_b32_e32 v1, 16, v1
	v_mad_u64_u32 v[23:24], s[0:1], s6, 25, v[1:2]
	s_mov_b32 s0, 0x51eb851f
	v_mov_b32_e32 v24, 0
	v_mul_hi_u32 v2, v23, s0
	s_load_dwordx2 s[6:7], s[4:5], 0x0
	s_load_dwordx2 s[0:1], s[4:5], 0x20
	s_movk_i32 s2, 0x3334
                                        ; implicit-def: $vgpr22
                                        ; implicit-def: $vgpr20
                                        ; implicit-def: $vgpr21
	v_lshrrev_b32_e32 v2, 3, v2
	v_mul_lo_u32 v2, v2, 25
	s_waitcnt lgkmcnt(0)
	v_cmp_gt_u64_e32 vcc, s[0:1], v[23:24]
	v_cmp_le_u64_e64 s[0:1], s[0:1], v[23:24]
	v_sub_u32_e32 v2, v23, v2
	s_and_saveexec_b64 s[8:9], s[0:1]
	s_xor_b64 s[0:1], exec, s[8:9]
; %bb.1:
	v_mul_u32_u24_sdwa v1, v0, s2 dst_sel:DWORD dst_unused:UNUSED_PAD src0_sel:WORD_0 src1_sel:DWORD
	v_mov_b32_e32 v3, 5
	v_mul_lo_u16_sdwa v1, v1, v3 dst_sel:DWORD dst_unused:UNUSED_PAD src0_sel:WORD_1 src1_sel:DWORD
	v_sub_u16_e32 v20, v0, v1
	v_sub_u16_e32 v22, v0, v1
	v_add_u32_e32 v21, 5, v20
                                        ; implicit-def: $vgpr1
                                        ; implicit-def: $vgpr0
; %bb.2:
	s_or_saveexec_b64 s[2:3], s[0:1]
	s_load_dwordx2 s[8:9], s[4:5], 0x18
	v_mul_u32_u24_e32 v2, 51, v2
	v_lshlrev_b32_e32 v2, 4, v2
	s_xor_b64 exec, exec, s[2:3]
	s_cbranch_execz .LBB0_4
; %bb.3:
	s_load_dwordx2 s[0:1], s[4:5], 0x10
	s_load_dwordx2 s[10:11], s[4:5], 0x50
	v_mul_lo_u16_e32 v19, 5, v1
	v_sub_u16_e32 v20, v0, v19
	s_waitcnt lgkmcnt(0)
	s_load_dwordx2 s[0:1], s[0:1], 0x8
	s_waitcnt lgkmcnt(0)
	v_mad_u64_u32 v[3:4], s[12:13], s0, v23, 0
	v_mov_b32_e32 v1, v4
	v_mad_u64_u32 v[4:5], s[0:1], s1, v23, v[1:2]
	v_mov_b32_e32 v5, s11
	v_lshlrev_b32_e32 v1, 4, v20
	v_lshlrev_b64 v[3:4], 4, v[3:4]
	v_add_co_u32_e64 v3, s[0:1], s10, v3
	v_addc_co_u32_e64 v4, s[0:1], v5, v4, s[0:1]
	v_add_co_u32_e64 v21, s[0:1], v3, v1
	v_addc_co_u32_e64 v22, s[0:1], 0, v4, s[0:1]
	global_load_dwordx4 v[3:6], v[21:22], off
	global_load_dwordx4 v[7:10], v[21:22], off offset:80
	global_load_dwordx4 v[11:14], v[21:22], off offset:160
	;; [unrolled: 1-line block ×9, first 2 shown]
	v_sub_u16_e32 v22, v0, v19
	v_add_u32_e32 v21, 5, v20
	v_add3_u32 v0, 0, v2, v1
	s_waitcnt vmcnt(9)
	ds_write_b128 v0, v[3:6]
	s_waitcnt vmcnt(8)
	ds_write_b128 v0, v[7:10] offset:80
	s_waitcnt vmcnt(7)
	ds_write_b128 v0, v[11:14] offset:160
	;; [unrolled: 2-line block ×9, first 2 shown]
.LBB0_4:
	s_or_b64 exec, exec, s[2:3]
	v_lshlrev_b32_e32 v36, 4, v20
	v_add_u32_e32 v34, 0, v2
	v_add3_u32 v37, 0, v36, v2
	s_waitcnt lgkmcnt(0)
	s_load_dwordx2 s[2:3], s[8:9], 0x8
	s_waitcnt lgkmcnt(0)
	s_barrier
	v_add_u32_e32 v35, v34, v36
	ds_read_b128 v[38:41], v37 offset:160
	ds_read_b128 v[42:45], v35
	ds_read_b128 v[16:19], v37 offset:80
	ds_read_b128 v[8:11], v37 offset:240
	;; [unrolled: 1-line block ×6, first 2 shown]
	s_mov_b32 s12, 0x134454ff
	s_waitcnt lgkmcnt(6)
	v_add_f64 v[0:1], v[42:43], v[38:39]
	s_waitcnt lgkmcnt(2)
	v_add_f64 v[24:25], v[50:51], v[46:47]
	v_add_f64 v[58:59], v[38:39], -v[50:51]
	s_mov_b32 s13, 0xbfee6f0e
	s_mov_b32 s11, 0x3fee6f0e
	;; [unrolled: 1-line block ×5, first 2 shown]
	v_add_f64 v[26:27], v[0:1], v[50:51]
	ds_read_b128 v[54:57], v37 offset:640
	ds_read_b128 v[0:3], v37 offset:720
	v_fma_f64 v[28:29], v[24:25], -0.5, v[42:43]
	s_mov_b32 s17, 0x3fe2cf23
	s_mov_b32 s16, s8
	s_waitcnt lgkmcnt(1)
	v_add_f64 v[32:33], v[40:41], -v[56:57]
	v_add_f64 v[30:31], v[38:39], v[54:55]
	v_add_f64 v[60:61], v[54:55], -v[46:47]
	v_add_f64 v[24:25], v[26:27], v[46:47]
	v_add_f64 v[26:27], v[52:53], -v[48:49]
	v_add_f64 v[64:65], v[50:51], -v[38:39]
	v_add_f64 v[66:67], v[46:47], -v[54:55]
	v_add_f64 v[38:39], v[38:39], -v[54:55]
	v_fma_f64 v[62:63], v[32:33], s[12:13], v[28:29]
	v_fma_f64 v[28:29], v[32:33], s[10:11], v[28:29]
	v_fma_f64 v[42:43], v[30:31], -0.5, v[42:43]
	v_add_f64 v[58:59], v[58:59], v[60:61]
	v_add_f64 v[60:61], v[52:53], v[48:49]
	s_mov_b32 s14, 0x372fe950
	s_mov_b32 s15, 0x3fd3c6ef
	v_add_f64 v[24:25], v[24:25], v[54:55]
	v_fma_f64 v[30:31], v[26:27], s[8:9], v[62:63]
	v_fma_f64 v[28:29], v[26:27], s[16:17], v[28:29]
	v_fma_f64 v[62:63], v[26:27], s[10:11], v[42:43]
	v_add_f64 v[68:69], v[44:45], v[40:41]
	v_fma_f64 v[60:61], v[60:61], -0.5, v[44:45]
	v_fma_f64 v[26:27], v[26:27], s[12:13], v[42:43]
	v_add_f64 v[46:47], v[50:51], -v[46:47]
	v_add_f64 v[50:51], v[40:41], -v[52:53]
	v_fma_f64 v[30:31], v[58:59], s[14:15], v[30:31]
	v_fma_f64 v[28:29], v[58:59], s[14:15], v[28:29]
	;; [unrolled: 1-line block ×3, first 2 shown]
	v_add_f64 v[58:59], v[64:65], v[66:67]
	v_fma_f64 v[62:63], v[38:39], s[10:11], v[60:61]
	v_add_f64 v[64:65], v[56:57], -v[48:49]
	v_fma_f64 v[60:61], v[38:39], s[12:13], v[60:61]
	v_add_f64 v[66:67], v[40:41], v[56:57]
	v_add_f64 v[42:43], v[68:69], v[52:53]
	v_fma_f64 v[26:27], v[32:33], s[16:17], v[26:27]
	v_add_f64 v[40:41], v[52:53], -v[40:41]
	v_fma_f64 v[32:33], v[58:59], s[14:15], v[54:55]
	v_add_f64 v[54:55], v[12:13], v[4:5]
	v_fma_f64 v[62:63], v[46:47], s[16:17], v[62:63]
	v_add_f64 v[50:51], v[50:51], v[64:65]
	v_fma_f64 v[60:61], v[46:47], s[8:9], v[60:61]
	v_fma_f64 v[44:45], v[66:67], -0.5, v[44:45]
	v_add_f64 v[42:43], v[42:43], v[48:49]
	s_waitcnt lgkmcnt(0)
	v_add_f64 v[66:67], v[10:11], -v[2:3]
	v_fma_f64 v[58:59], v[58:59], s[14:15], v[26:27]
	v_fma_f64 v[54:55], v[54:55], -0.5, v[16:17]
	v_add_f64 v[48:49], v[48:49], -v[56:57]
	v_fma_f64 v[62:63], v[50:51], s[14:15], v[62:63]
	v_fma_f64 v[26:27], v[50:51], s[14:15], v[60:61]
	;; [unrolled: 1-line block ×4, first 2 shown]
	v_add_f64 v[64:65], v[42:43], v[56:57]
	v_add_f64 v[42:43], v[16:17], v[8:9]
	v_fma_f64 v[46:47], v[66:67], s[12:13], v[54:55]
	v_add_f64 v[52:53], v[14:15], -v[6:7]
	v_add_f64 v[56:57], v[8:9], -v[12:13]
	;; [unrolled: 1-line block ×3, first 2 shown]
	v_add_f64 v[70:71], v[14:15], v[6:7]
	v_fma_f64 v[50:51], v[38:39], s[16:17], v[50:51]
	v_add_f64 v[40:41], v[40:41], v[48:49]
	v_fma_f64 v[38:39], v[38:39], s[8:9], v[44:45]
	v_add_f64 v[42:43], v[42:43], v[12:13]
	v_add_f64 v[68:69], v[8:9], v[0:1]
	v_fma_f64 v[44:45], v[52:53], s[8:9], v[46:47]
	v_add_f64 v[46:47], v[56:57], v[60:61]
	v_fma_f64 v[48:49], v[66:67], s[10:11], v[54:55]
	v_fma_f64 v[54:55], v[70:71], -0.5, v[18:19]
	v_add_f64 v[56:57], v[8:9], -v[0:1]
	v_fma_f64 v[50:51], v[40:41], s[14:15], v[50:51]
	v_fma_f64 v[60:61], v[40:41], s[14:15], v[38:39]
	v_add_f64 v[40:41], v[10:11], v[2:3]
	v_add_f64 v[42:43], v[42:43], v[4:5]
	v_fma_f64 v[16:17], v[68:69], -0.5, v[16:17]
	v_add_f64 v[70:71], v[12:13], -v[4:5]
	v_add_f64 v[72:73], v[10:11], -v[14:15]
	v_fma_f64 v[68:69], v[56:57], s[10:11], v[54:55]
	v_add_f64 v[74:75], v[2:3], -v[6:7]
	v_add_f64 v[8:9], v[12:13], -v[8:9]
	v_fma_f64 v[40:41], v[40:41], -0.5, v[18:19]
	v_add_f64 v[12:13], v[18:19], v[10:11]
	v_add_f64 v[38:39], v[42:43], v[0:1]
	v_fma_f64 v[42:43], v[52:53], s[10:11], v[16:17]
	v_fma_f64 v[16:17], v[52:53], s[12:13], v[16:17]
	v_add_f64 v[0:1], v[4:5], -v[0:1]
	v_fma_f64 v[4:5], v[70:71], s[16:17], v[68:69]
	v_add_f64 v[18:19], v[72:73], v[74:75]
	v_fma_f64 v[48:49], v[52:53], s[16:17], v[48:49]
	v_fma_f64 v[52:53], v[70:71], s[12:13], v[40:41]
	v_add_f64 v[10:11], v[14:15], -v[10:11]
	v_add_f64 v[68:69], v[6:7], -v[2:3]
	v_fma_f64 v[40:41], v[70:71], s[10:11], v[40:41]
	v_add_f64 v[12:13], v[12:13], v[14:15]
	v_fma_f64 v[14:15], v[56:57], s[12:13], v[54:55]
	v_add_f64 v[0:1], v[8:9], v[0:1]
	v_fma_f64 v[8:9], v[66:67], s[16:17], v[16:17]
	v_fma_f64 v[16:17], v[18:19], s[14:15], v[4:5]
	;; [unrolled: 1-line block ×3, first 2 shown]
	v_add_f64 v[10:11], v[10:11], v[68:69]
	v_fma_f64 v[40:41], v[56:57], s[8:9], v[40:41]
	v_add_f64 v[6:7], v[12:13], v[6:7]
	v_fma_f64 v[12:13], v[70:71], s[8:9], v[14:15]
	v_fma_f64 v[44:45], v[46:47], s[14:15], v[44:45]
	;; [unrolled: 1-line block ×3, first 2 shown]
	v_mul_f64 v[46:47], v[16:17], s[8:9]
	v_fma_f64 v[42:43], v[66:67], s[8:9], v[42:43]
	v_fma_f64 v[4:5], v[10:11], s[14:15], v[4:5]
	;; [unrolled: 1-line block ×3, first 2 shown]
	v_add_f64 v[40:41], v[6:7], v[2:3]
	v_fma_f64 v[2:3], v[18:19], s[14:15], v[12:13]
	s_mov_b32 s0, 0x9b97f4a8
	s_mov_b32 s1, 0x3fe9e377
	v_fma_f64 v[46:47], v[44:45], s[0:1], v[46:47]
	v_mul_f64 v[44:45], v[44:45], s[16:17]
	v_fma_f64 v[42:43], v[0:1], s[14:15], v[42:43]
	v_mul_f64 v[6:7], v[4:5], s[12:13]
	s_mov_b32 s19, 0xbfd3c6ef
	s_mov_b32 s18, s14
	v_mul_f64 v[48:49], v[4:5], s[14:15]
	v_fma_f64 v[8:9], v[0:1], s[14:15], v[8:9]
	v_mul_f64 v[12:13], v[10:11], s[12:13]
	s_mov_b32 s21, 0xbfe9e377
	s_mov_b32 s20, s0
	v_mul_f64 v[10:11], v[10:11], s[18:19]
	v_mul_f64 v[18:19], v[2:3], s[8:9]
	;; [unrolled: 1-line block ×3, first 2 shown]
	v_fma_f64 v[44:45], v[16:17], s[0:1], v[44:45]
	v_fma_f64 v[52:53], v[42:43], s[14:15], v[6:7]
	;; [unrolled: 1-line block ×4, first 2 shown]
	v_add_f64 v[0:1], v[24:25], v[38:39]
	v_fma_f64 v[66:67], v[8:9], s[10:11], v[10:11]
	v_fma_f64 v[56:57], v[14:15], s[20:21], v[18:19]
	;; [unrolled: 1-line block ×3, first 2 shown]
	v_add_f64 v[2:3], v[64:65], v[40:41]
	v_add_f64 v[4:5], v[30:31], v[46:47]
	;; [unrolled: 1-line block ×9, first 2 shown]
	v_add_f64 v[38:39], v[24:25], -v[38:39]
	v_add_f64 v[40:41], v[64:65], -v[40:41]
	;; [unrolled: 1-line block ×5, first 2 shown]
	s_movk_i32 s0, 0x90
	v_add_f64 v[24:25], v[28:29], -v[56:57]
	v_add_f64 v[44:45], v[50:51], -v[48:49]
	v_mad_u32_u24 v28, v20, s0, v37
	v_add_f64 v[46:47], v[58:59], -v[54:55]
	v_add_f64 v[48:49], v[60:61], -v[66:67]
	;; [unrolled: 1-line block ×3, first 2 shown]
	s_barrier
	ds_write_b128 v28, v[0:3]
	ds_write_b128 v28, v[4:7] offset:16
	ds_write_b128 v28, v[8:11] offset:32
	;; [unrolled: 1-line block ×9, first 2 shown]
	v_lshlrev_b32_e32 v17, 2, v20
	v_mov_b32_e32 v18, 0
	v_lshlrev_b64 v[0:1], 4, v[17:18]
	v_mov_b32_e32 v12, s7
	v_add_co_u32_e64 v24, s[0:1], s6, v0
	v_addc_co_u32_e64 v25, s[0:1], v12, v1, s[0:1]
	s_waitcnt lgkmcnt(0)
	s_barrier
	global_load_dwordx4 v[0:3], v[24:25], off
	global_load_dwordx4 v[4:7], v[24:25], off offset:16
	global_load_dwordx4 v[8:11], v[24:25], off offset:32
	;; [unrolled: 1-line block ×3, first 2 shown]
	v_lshlrev_b32_e32 v17, 2, v21
	v_lshlrev_b64 v[17:18], 4, v[17:18]
	v_add_co_u32_e64 v17, s[0:1], s6, v17
	v_addc_co_u32_e64 v18, s[0:1], v12, v18, s[0:1]
	global_load_dwordx4 v[24:27], v[17:18], off
	global_load_dwordx4 v[28:31], v[17:18], off offset:16
	global_load_dwordx4 v[38:41], v[17:18], off offset:32
	;; [unrolled: 1-line block ×3, first 2 shown]
	ds_read_b128 v[46:49], v37 offset:160
	ds_read_b128 v[50:53], v37 offset:320
	;; [unrolled: 1-line block ×7, first 2 shown]
	v_lshl_add_u32 v12, v21, 4, v34
	v_cmp_ne_u16_e64 s[0:1], 0, v22
	s_waitcnt vmcnt(7) lgkmcnt(6)
	v_mul_f64 v[17:18], v[48:49], v[2:3]
	v_mul_f64 v[2:3], v[46:47], v[2:3]
	s_waitcnt vmcnt(6) lgkmcnt(5)
	v_mul_f64 v[32:33], v[52:53], v[6:7]
	s_waitcnt vmcnt(4) lgkmcnt(1)
	v_mul_f64 v[74:75], v[68:69], v[15:16]
	v_mul_f64 v[15:16], v[66:67], v[15:16]
	;; [unrolled: 1-line block ×3, first 2 shown]
	v_fma_f64 v[17:18], v[46:47], v[0:1], v[17:18]
	v_fma_f64 v[46:47], v[48:49], v[0:1], -v[2:3]
	v_mul_f64 v[48:49], v[60:61], v[10:11]
	v_mul_f64 v[10:11], v[58:59], v[10:11]
	v_fma_f64 v[32:33], v[50:51], v[4:5], v[32:33]
	v_fma_f64 v[15:16], v[68:69], v[13:14], -v[15:16]
	v_fma_f64 v[50:51], v[52:53], v[4:5], -v[6:7]
	ds_read_b128 v[0:3], v35
	v_fma_f64 v[48:49], v[58:59], v[8:9], v[48:49]
	v_fma_f64 v[58:59], v[66:67], v[13:14], v[74:75]
	s_waitcnt vmcnt(3)
	v_mul_f64 v[13:14], v[56:57], v[26:27]
	v_mul_f64 v[26:27], v[54:55], v[26:27]
	v_fma_f64 v[52:53], v[60:61], v[8:9], -v[10:11]
	s_waitcnt vmcnt(2)
	v_mul_f64 v[60:61], v[64:65], v[30:31]
	v_mul_f64 v[30:31], v[62:63], v[30:31]
	s_waitcnt vmcnt(1) lgkmcnt(1)
	v_mul_f64 v[66:67], v[72:73], v[40:41]
	v_mul_f64 v[40:41], v[70:71], v[40:41]
	ds_read_b128 v[4:7], v12
	ds_read_b128 v[8:11], v37 offset:720
	v_fma_f64 v[54:55], v[54:55], v[24:25], v[13:14]
	v_fma_f64 v[56:57], v[56:57], v[24:25], -v[26:27]
	v_add_f64 v[13:14], v[32:33], v[48:49]
	v_add_f64 v[24:25], v[17:18], v[58:59]
	v_fma_f64 v[60:61], v[62:63], v[28:29], v[60:61]
	v_fma_f64 v[62:63], v[64:65], v[28:29], -v[30:31]
	v_fma_f64 v[64:65], v[70:71], v[38:39], v[66:67]
	v_fma_f64 v[40:41], v[72:73], v[38:39], -v[40:41]
	s_waitcnt vmcnt(0) lgkmcnt(0)
	v_mul_f64 v[26:27], v[10:11], v[44:45]
	v_add_f64 v[28:29], v[0:1], v[17:18]
	v_fma_f64 v[13:14], v[13:14], -0.5, v[0:1]
	v_add_f64 v[30:31], v[46:47], -v[15:16]
	v_add_f64 v[38:39], v[17:18], -v[32:33]
	;; [unrolled: 1-line block ×4, first 2 shown]
	v_fma_f64 v[0:1], v[24:25], -0.5, v[0:1]
	v_fma_f64 v[70:71], v[8:9], v[42:43], v[26:27]
	v_add_f64 v[24:25], v[32:33], -v[17:18]
	v_add_f64 v[26:27], v[48:49], -v[58:59]
	v_add_f64 v[28:29], v[28:29], v[32:33]
	v_fma_f64 v[72:73], v[30:31], s[12:13], v[13:14]
	v_add_f64 v[38:39], v[38:39], v[66:67]
	v_add_f64 v[74:75], v[2:3], v[46:47]
	v_fma_f64 v[66:67], v[68:69], s[10:11], v[0:1]
	v_mul_f64 v[8:9], v[8:9], v[44:45]
	v_fma_f64 v[13:14], v[30:31], s[10:11], v[13:14]
	v_add_f64 v[76:77], v[50:51], v[52:53]
	v_add_f64 v[26:27], v[24:25], v[26:27]
	;; [unrolled: 1-line block ×3, first 2 shown]
	v_fma_f64 v[28:29], v[68:69], s[8:9], v[72:73]
	v_add_f64 v[17:18], v[17:18], -v[58:59]
	v_fma_f64 v[44:45], v[30:31], s[8:9], v[66:67]
	v_add_f64 v[66:67], v[74:75], v[50:51]
	v_fma_f64 v[74:75], v[10:11], v[42:43], -v[8:9]
	v_add_f64 v[42:43], v[46:47], v[15:16]
	v_fma_f64 v[13:14], v[68:69], s[16:17], v[13:14]
	v_fma_f64 v[72:73], v[76:77], -0.5, v[2:3]
	v_add_f64 v[8:9], v[24:25], v[58:59]
	v_fma_f64 v[10:11], v[68:69], s[12:13], v[0:1]
	v_fma_f64 v[0:1], v[38:39], s[14:15], v[28:29]
	;; [unrolled: 1-line block ×3, first 2 shown]
	v_add_f64 v[28:29], v[66:67], v[52:53]
	v_add_f64 v[44:45], v[60:61], v[64:65]
	v_add_f64 v[32:33], v[32:33], -v[48:49]
	v_fma_f64 v[2:3], v[42:43], -0.5, v[2:3]
	v_fma_f64 v[13:14], v[38:39], s[14:15], v[13:14]
	v_fma_f64 v[38:39], v[17:18], s[10:11], v[72:73]
	;; [unrolled: 1-line block ×3, first 2 shown]
	v_add_f64 v[48:49], v[46:47], -v[50:51]
	v_add_f64 v[58:59], v[15:16], -v[52:53]
	v_fma_f64 v[66:67], v[17:18], s[12:13], v[72:73]
	v_add_f64 v[10:11], v[28:29], v[15:16]
	v_add_f64 v[28:29], v[4:5], v[54:55]
	v_fma_f64 v[42:43], v[44:45], -0.5, v[4:5]
	v_add_f64 v[44:45], v[56:57], -v[74:75]
	v_add_f64 v[46:47], v[50:51], -v[46:47]
	;; [unrolled: 1-line block ×3, first 2 shown]
	v_fma_f64 v[50:51], v[32:33], s[12:13], v[2:3]
	v_fma_f64 v[2:3], v[32:33], s[10:11], v[2:3]
	;; [unrolled: 1-line block ×3, first 2 shown]
	v_add_f64 v[48:49], v[48:49], v[58:59]
	v_fma_f64 v[58:59], v[32:33], s[8:9], v[66:67]
	v_add_f64 v[32:33], v[28:29], v[60:61]
	v_fma_f64 v[52:53], v[44:45], s[12:13], v[42:43]
	v_add_f64 v[66:67], v[62:63], -v[40:41]
	v_add_f64 v[68:69], v[54:55], -v[60:61]
	;; [unrolled: 1-line block ×3, first 2 shown]
	v_add_f64 v[46:47], v[46:47], v[15:16]
	v_add_f64 v[15:16], v[54:55], v[70:71]
	v_fma_f64 v[28:29], v[26:27], s[14:15], v[30:31]
	v_fma_f64 v[26:27], v[17:18], s[16:17], v[50:51]
	;; [unrolled: 1-line block ×3, first 2 shown]
	v_add_f64 v[32:33], v[32:33], v[64:65]
	v_fma_f64 v[50:51], v[66:67], s[8:9], v[52:53]
	v_add_f64 v[52:53], v[68:69], v[72:73]
	v_fma_f64 v[2:3], v[48:49], s[14:15], v[38:39]
	v_fma_f64 v[68:69], v[15:16], -0.5, v[4:5]
	v_fma_f64 v[15:16], v[48:49], s[14:15], v[58:59]
	v_add_f64 v[48:49], v[56:57], v[74:75]
	v_fma_f64 v[30:31], v[46:47], s[14:15], v[17:18]
	v_add_f64 v[17:18], v[62:63], v[40:41]
	v_add_f64 v[4:5], v[32:33], v[70:71]
	v_fma_f64 v[32:33], v[44:45], s[10:11], v[42:43]
	v_fma_f64 v[26:27], v[46:47], s[14:15], v[26:27]
	;; [unrolled: 1-line block ×4, first 2 shown]
	v_add_f64 v[46:47], v[60:61], -v[54:55]
	v_add_f64 v[50:51], v[64:65], -v[70:71]
	v_add_f64 v[58:59], v[6:7], v[56:57]
	v_fma_f64 v[17:18], v[17:18], -0.5, v[6:7]
	v_add_f64 v[54:55], v[54:55], -v[70:71]
	v_fma_f64 v[6:7], v[48:49], -0.5, v[6:7]
	v_fma_f64 v[70:71], v[44:45], s[8:9], v[42:43]
	v_add_f64 v[42:43], v[60:61], -v[64:65]
	v_add_f64 v[60:61], v[56:57], -v[62:63]
	v_add_f64 v[48:49], v[46:47], v[50:51]
	v_add_f64 v[50:51], v[58:59], v[62:63]
	v_add_f64 v[64:65], v[74:75], -v[40:41]
	v_fma_f64 v[58:59], v[54:55], s[10:11], v[17:18]
	v_fma_f64 v[32:33], v[66:67], s[16:17], v[32:33]
	;; [unrolled: 1-line block ×4, first 2 shown]
	v_add_f64 v[56:57], v[62:63], -v[56:57]
	v_add_f64 v[62:63], v[40:41], -v[74:75]
	v_fma_f64 v[17:18], v[54:55], s[12:13], v[17:18]
	v_fma_f64 v[6:7], v[42:43], s[10:11], v[6:7]
	v_add_f64 v[40:41], v[50:51], v[40:41]
	v_fma_f64 v[58:59], v[42:43], s[16:17], v[58:59]
	v_add_f64 v[60:61], v[60:61], v[64:65]
	v_fma_f64 v[44:45], v[44:45], s[16:17], v[46:47]
	v_fma_f64 v[64:65], v[54:55], s[16:17], v[66:67]
	v_add_f64 v[56:57], v[56:57], v[62:63]
	v_fma_f64 v[17:18], v[42:43], s[8:9], v[17:18]
	v_fma_f64 v[54:55], v[54:55], s[8:9], v[6:7]
	v_add_f64 v[6:7], v[40:41], v[74:75]
	v_fma_f64 v[46:47], v[48:49], s[14:15], v[70:71]
	v_fma_f64 v[40:41], v[60:61], s[14:15], v[58:59]
	v_fma_f64 v[50:51], v[48:49], s[14:15], v[44:45]
	;; [unrolled: 1-line block ×6, first 2 shown]
	s_barrier
	ds_write_b128 v37, v[8:11]
	ds_write_b128 v37, v[0:3] offset:160
	ds_write_b128 v37, v[24:27] offset:320
	;; [unrolled: 1-line block ×4, first 2 shown]
	ds_write_b128 v12, v[4:7]
	ds_write_b128 v12, v[38:41] offset:160
	ds_write_b128 v12, v[46:49] offset:320
	;; [unrolled: 1-line block ×4, first 2 shown]
	s_waitcnt lgkmcnt(0)
	s_barrier
	ds_read_b128 v[4:7], v35
	v_sub_u32_e32 v13, v34, v36
                                        ; implicit-def: $vgpr0_vgpr1
                                        ; implicit-def: $vgpr8_vgpr9
                                        ; implicit-def: $vgpr10_vgpr11
	s_and_saveexec_b64 s[8:9], s[0:1]
	s_xor_b64 s[0:1], exec, s[8:9]
	s_cbranch_execz .LBB0_6
; %bb.5:
	v_mov_b32_e32 v0, 4
	v_lshlrev_b32_sdwa v0, v0, v22 dst_sel:DWORD dst_unused:UNUSED_PAD src0_sel:DWORD src1_sel:WORD_0
	global_load_dwordx4 v[14:17], v0, s[6:7] offset:640
	ds_read_b128 v[0:3], v13 offset:800
	s_waitcnt lgkmcnt(0)
	v_add_f64 v[8:9], v[4:5], -v[0:1]
	v_add_f64 v[10:11], v[6:7], v[2:3]
	v_add_f64 v[2:3], v[6:7], -v[2:3]
	v_add_f64 v[0:1], v[4:5], v[0:1]
	v_mul_f64 v[6:7], v[8:9], 0.5
	v_mul_f64 v[4:5], v[10:11], 0.5
	;; [unrolled: 1-line block ×3, first 2 shown]
	s_waitcnt vmcnt(0)
	v_mul_f64 v[8:9], v[6:7], v[16:17]
	v_fma_f64 v[10:11], v[4:5], v[16:17], v[2:3]
	v_fma_f64 v[2:3], v[4:5], v[16:17], -v[2:3]
	v_fma_f64 v[18:19], v[0:1], 0.5, v[8:9]
	v_fma_f64 v[0:1], v[0:1], 0.5, -v[8:9]
	v_fma_f64 v[10:11], -v[14:15], v[6:7], v[10:11]
	v_fma_f64 v[2:3], -v[14:15], v[6:7], v[2:3]
	v_fma_f64 v[8:9], v[4:5], v[14:15], v[18:19]
	v_fma_f64 v[0:1], -v[4:5], v[14:15], v[0:1]
                                        ; implicit-def: $vgpr4_vgpr5
.LBB0_6:
	s_andn2_saveexec_b64 s[0:1], s[0:1]
	s_cbranch_execz .LBB0_8
; %bb.7:
	s_waitcnt lgkmcnt(0)
	v_add_f64 v[8:9], v[4:5], v[6:7]
	ds_read_b64 v[2:3], v34 offset:408
	v_add_f64 v[0:1], v[4:5], -v[6:7]
	v_mov_b32_e32 v10, 0
	v_mov_b32_e32 v11, 0
	s_waitcnt lgkmcnt(0)
	v_xor_b32_e32 v3, 0x80000000, v3
	ds_write_b64 v34, v[2:3] offset:408
	v_mov_b32_e32 v2, v10
	v_mov_b32_e32 v3, v11
.LBB0_8:
	s_or_b64 exec, exec, s[0:1]
	v_mov_b32_e32 v22, 0
	s_waitcnt lgkmcnt(0)
	v_lshlrev_b64 v[4:5], 4, v[21:22]
	v_mov_b32_e32 v6, s7
	v_add_co_u32_e64 v4, s[0:1], s6, v4
	v_addc_co_u32_e64 v5, s[0:1], v6, v5, s[0:1]
	global_load_dwordx4 v[4:7], v[4:5], off offset:640
	v_mov_b32_e32 v21, v22
	s_add_u32 s0, s6, 0x280
	v_lshlrev_b64 v[14:15], 4, v[20:21]
	s_addc_u32 s1, s7, 0
	v_mov_b32_e32 v16, s1
	v_add_co_u32_e64 v18, s[0:1], s0, v14
	v_addc_co_u32_e64 v19, s[0:1], v16, v15, s[0:1]
	global_load_dwordx4 v[14:17], v[18:19], off offset:160
	ds_write2_b64 v35, v[8:9], v[10:11] offset1:1
	ds_write_b128 v13, v[0:3] offset:800
	ds_read_b128 v[0:3], v12
	ds_read_b128 v[8:11], v13 offset:720
	s_waitcnt lgkmcnt(0)
	v_add_f64 v[24:25], v[0:1], -v[8:9]
	v_add_f64 v[26:27], v[2:3], v[10:11]
	v_add_f64 v[2:3], v[2:3], -v[10:11]
	v_add_f64 v[0:1], v[0:1], v[8:9]
	v_mul_f64 v[10:11], v[24:25], 0.5
	v_mul_f64 v[24:25], v[26:27], 0.5
	;; [unrolled: 1-line block ×3, first 2 shown]
	s_waitcnt vmcnt(1)
	v_mul_f64 v[8:9], v[10:11], v[6:7]
	v_fma_f64 v[26:27], v[24:25], v[6:7], v[2:3]
	v_fma_f64 v[6:7], v[24:25], v[6:7], -v[2:3]
	v_fma_f64 v[28:29], v[0:1], 0.5, v[8:9]
	v_fma_f64 v[8:9], v[0:1], 0.5, -v[8:9]
	global_load_dwordx4 v[0:3], v[18:19], off offset:240
	v_fma_f64 v[26:27], -v[4:5], v[10:11], v[26:27]
	v_fma_f64 v[6:7], -v[4:5], v[10:11], v[6:7]
	v_fma_f64 v[10:11], v[24:25], v[4:5], v[28:29]
	v_fma_f64 v[4:5], -v[24:25], v[4:5], v[8:9]
	ds_write2_b64 v12, v[10:11], v[26:27] offset1:1
	ds_write_b128 v13, v[4:7] offset:720
	ds_read_b128 v[4:7], v35 offset:160
	ds_read_b128 v[8:11], v13 offset:640
	s_waitcnt lgkmcnt(0)
	v_add_f64 v[24:25], v[4:5], -v[8:9]
	v_add_f64 v[26:27], v[6:7], v[10:11]
	v_add_f64 v[6:7], v[6:7], -v[10:11]
	v_add_f64 v[4:5], v[4:5], v[8:9]
	v_mul_f64 v[10:11], v[24:25], 0.5
	v_mul_f64 v[24:25], v[26:27], 0.5
	v_mul_f64 v[6:7], v[6:7], 0.5
	s_waitcnt vmcnt(1)
	v_mul_f64 v[8:9], v[10:11], v[16:17]
	v_fma_f64 v[26:27], v[24:25], v[16:17], v[6:7]
	v_fma_f64 v[16:17], v[24:25], v[16:17], -v[6:7]
	v_fma_f64 v[28:29], v[4:5], 0.5, v[8:9]
	v_fma_f64 v[8:9], v[4:5], 0.5, -v[8:9]
	global_load_dwordx4 v[4:7], v[18:19], off offset:320
	v_fma_f64 v[18:19], -v[14:15], v[10:11], v[26:27]
	v_fma_f64 v[10:11], -v[14:15], v[10:11], v[16:17]
	v_fma_f64 v[16:17], v[24:25], v[14:15], v[28:29]
	v_fma_f64 v[8:9], -v[24:25], v[14:15], v[8:9]
	ds_write2_b64 v35, v[16:17], v[18:19] offset0:20 offset1:21
	ds_write_b128 v13, v[8:11] offset:640
	ds_read_b128 v[8:11], v35 offset:240
	ds_read_b128 v[14:17], v13 offset:560
	s_waitcnt lgkmcnt(0)
	v_add_f64 v[18:19], v[8:9], -v[14:15]
	v_add_f64 v[24:25], v[10:11], v[16:17]
	v_add_f64 v[10:11], v[10:11], -v[16:17]
	v_add_f64 v[8:9], v[8:9], v[14:15]
	v_mul_f64 v[16:17], v[18:19], 0.5
	v_mul_f64 v[18:19], v[24:25], 0.5
	;; [unrolled: 1-line block ×3, first 2 shown]
	s_waitcnt vmcnt(1)
	v_mul_f64 v[14:15], v[16:17], v[2:3]
	v_fma_f64 v[24:25], v[18:19], v[2:3], v[10:11]
	v_fma_f64 v[2:3], v[18:19], v[2:3], -v[10:11]
	v_fma_f64 v[10:11], v[8:9], 0.5, v[14:15]
	v_fma_f64 v[8:9], v[8:9], 0.5, -v[14:15]
	v_fma_f64 v[14:15], -v[0:1], v[16:17], v[24:25]
	v_fma_f64 v[2:3], -v[0:1], v[16:17], v[2:3]
	v_fma_f64 v[10:11], v[18:19], v[0:1], v[10:11]
	v_fma_f64 v[0:1], -v[18:19], v[0:1], v[8:9]
	ds_write2_b64 v35, v[10:11], v[14:15] offset0:30 offset1:31
	ds_write_b128 v13, v[0:3] offset:560
	ds_read_b128 v[0:3], v35 offset:320
	ds_read_b128 v[8:11], v13 offset:480
	s_waitcnt lgkmcnt(0)
	v_add_f64 v[14:15], v[0:1], -v[8:9]
	v_add_f64 v[16:17], v[2:3], v[10:11]
	v_add_f64 v[2:3], v[2:3], -v[10:11]
	v_add_f64 v[0:1], v[0:1], v[8:9]
	v_mul_f64 v[10:11], v[14:15], 0.5
	v_mul_f64 v[14:15], v[16:17], 0.5
	;; [unrolled: 1-line block ×3, first 2 shown]
	s_waitcnt vmcnt(0)
	v_mul_f64 v[8:9], v[10:11], v[6:7]
	v_fma_f64 v[16:17], v[14:15], v[6:7], v[2:3]
	v_fma_f64 v[2:3], v[14:15], v[6:7], -v[2:3]
	v_fma_f64 v[6:7], v[0:1], 0.5, v[8:9]
	v_fma_f64 v[0:1], v[0:1], 0.5, -v[8:9]
	v_fma_f64 v[8:9], -v[4:5], v[10:11], v[16:17]
	v_fma_f64 v[2:3], -v[4:5], v[10:11], v[2:3]
	v_fma_f64 v[6:7], v[14:15], v[4:5], v[6:7]
	v_fma_f64 v[0:1], -v[14:15], v[4:5], v[0:1]
	ds_write2_b64 v35, v[6:7], v[8:9] offset0:40 offset1:41
	ds_write_b128 v13, v[0:3] offset:480
	s_waitcnt lgkmcnt(0)
	s_barrier
	s_and_saveexec_b64 s[0:1], vcc
	s_cbranch_execz .LBB0_11
; %bb.9:
	v_mad_u64_u32 v[0:1], s[0:1], s2, v23, 0
	s_load_dwordx2 s[0:1], s[4:5], 0x58
	v_mov_b32_e32 v21, v22
	v_mad_u64_u32 v[1:2], s[2:3], s3, v23, v[1:2]
	v_lshl_add_u32 v2, v20, 4, v34
	ds_read_b128 v[3:6], v2
	v_lshlrev_b64 v[0:1], 4, v[0:1]
	s_waitcnt lgkmcnt(0)
	v_mov_b32_e32 v7, s1
	v_add_co_u32_e32 v0, vcc, s0, v0
	v_addc_co_u32_e32 v1, vcc, v7, v1, vcc
	v_lshlrev_b64 v[7:8], 4, v[20:21]
	v_add_u32_e32 v21, 5, v20
	v_add_co_u32_e32 v11, vcc, v0, v7
	v_addc_co_u32_e32 v12, vcc, v1, v8, vcc
	ds_read_b128 v[7:10], v2 offset:80
	global_store_dwordx4 v[11:12], v[3:6], off
	s_nop 0
	v_lshlrev_b64 v[3:4], 4, v[21:22]
	v_add_u32_e32 v21, 10, v20
	v_add_co_u32_e32 v3, vcc, v0, v3
	v_addc_co_u32_e32 v4, vcc, v1, v4, vcc
	s_waitcnt lgkmcnt(0)
	global_store_dwordx4 v[3:4], v[7:10], off
	ds_read_b128 v[3:6], v2 offset:160
	v_lshlrev_b64 v[7:8], 4, v[21:22]
	v_add_u32_e32 v21, 15, v20
	v_add_co_u32_e32 v11, vcc, v0, v7
	v_addc_co_u32_e32 v12, vcc, v1, v8, vcc
	ds_read_b128 v[7:10], v2 offset:240
	s_waitcnt lgkmcnt(1)
	global_store_dwordx4 v[11:12], v[3:6], off
	s_nop 0
	v_lshlrev_b64 v[3:4], 4, v[21:22]
	v_add_u32_e32 v21, 20, v20
	v_add_co_u32_e32 v3, vcc, v0, v3
	v_addc_co_u32_e32 v4, vcc, v1, v4, vcc
	s_waitcnt lgkmcnt(0)
	global_store_dwordx4 v[3:4], v[7:10], off
	ds_read_b128 v[3:6], v2 offset:320
	v_lshlrev_b64 v[7:8], 4, v[21:22]
	v_add_u32_e32 v21, 25, v20
	v_add_co_u32_e32 v11, vcc, v0, v7
	v_addc_co_u32_e32 v12, vcc, v1, v8, vcc
	ds_read_b128 v[7:10], v2 offset:400
	s_waitcnt lgkmcnt(1)
	global_store_dwordx4 v[11:12], v[3:6], off
	s_nop 0
	v_lshlrev_b64 v[3:4], 4, v[21:22]
	v_add_u32_e32 v21, 30, v20
	v_add_co_u32_e32 v3, vcc, v0, v3
	v_addc_co_u32_e32 v4, vcc, v1, v4, vcc
	s_waitcnt lgkmcnt(0)
	global_store_dwordx4 v[3:4], v[7:10], off
	ds_read_b128 v[3:6], v2 offset:480
	v_lshlrev_b64 v[7:8], 4, v[21:22]
	v_add_u32_e32 v21, 35, v20
	v_add_co_u32_e32 v11, vcc, v0, v7
	v_addc_co_u32_e32 v12, vcc, v1, v8, vcc
	ds_read_b128 v[7:10], v2 offset:560
	s_waitcnt lgkmcnt(1)
	global_store_dwordx4 v[11:12], v[3:6], off
	s_nop 0
	v_lshlrev_b64 v[3:4], 4, v[21:22]
	v_add_u32_e32 v21, 40, v20
	v_add_co_u32_e32 v3, vcc, v0, v3
	v_addc_co_u32_e32 v4, vcc, v1, v4, vcc
	s_waitcnt lgkmcnt(0)
	global_store_dwordx4 v[3:4], v[7:10], off
	ds_read_b128 v[3:6], v2 offset:640
	v_lshlrev_b64 v[7:8], 4, v[21:22]
	v_add_u32_e32 v21, 45, v20
	v_add_co_u32_e32 v11, vcc, v0, v7
	v_addc_co_u32_e32 v12, vcc, v1, v8, vcc
	ds_read_b128 v[7:10], v2 offset:720
	s_waitcnt lgkmcnt(1)
	global_store_dwordx4 v[11:12], v[3:6], off
	s_nop 0
	v_lshlrev_b64 v[3:4], 4, v[21:22]
	v_add_co_u32_e32 v3, vcc, v0, v3
	v_addc_co_u32_e32 v4, vcc, v1, v4, vcc
	v_cmp_eq_u32_e32 vcc, 4, v20
	s_waitcnt lgkmcnt(0)
	global_store_dwordx4 v[3:4], v[7:10], off
	s_and_b64 exec, exec, vcc
	s_cbranch_execz .LBB0_11
; %bb.10:
	ds_read_b128 v[2:5], v2 offset:736
	s_waitcnt lgkmcnt(0)
	global_store_dwordx4 v[0:1], v[2:5], off offset:800
.LBB0_11:
	s_endpgm
	.section	.rodata,"a",@progbits
	.p2align	6, 0x0
	.amdhsa_kernel fft_rtc_back_len50_factors_10_5_wgs_125_tpt_5_halfLds_dim1_dp_op_CI_CI_unitstride_sbrr_R2C_dirReg
		.amdhsa_group_segment_fixed_size 0
		.amdhsa_private_segment_fixed_size 0
		.amdhsa_kernarg_size 96
		.amdhsa_user_sgpr_count 6
		.amdhsa_user_sgpr_private_segment_buffer 1
		.amdhsa_user_sgpr_dispatch_ptr 0
		.amdhsa_user_sgpr_queue_ptr 0
		.amdhsa_user_sgpr_kernarg_segment_ptr 1
		.amdhsa_user_sgpr_dispatch_id 0
		.amdhsa_user_sgpr_flat_scratch_init 0
		.amdhsa_user_sgpr_private_segment_size 0
		.amdhsa_uses_dynamic_stack 0
		.amdhsa_system_sgpr_private_segment_wavefront_offset 0
		.amdhsa_system_sgpr_workgroup_id_x 1
		.amdhsa_system_sgpr_workgroup_id_y 0
		.amdhsa_system_sgpr_workgroup_id_z 0
		.amdhsa_system_sgpr_workgroup_info 0
		.amdhsa_system_vgpr_workitem_id 0
		.amdhsa_next_free_vgpr 78
		.amdhsa_next_free_sgpr 22
		.amdhsa_reserve_vcc 1
		.amdhsa_reserve_flat_scratch 0
		.amdhsa_float_round_mode_32 0
		.amdhsa_float_round_mode_16_64 0
		.amdhsa_float_denorm_mode_32 3
		.amdhsa_float_denorm_mode_16_64 3
		.amdhsa_dx10_clamp 1
		.amdhsa_ieee_mode 1
		.amdhsa_fp16_overflow 0
		.amdhsa_exception_fp_ieee_invalid_op 0
		.amdhsa_exception_fp_denorm_src 0
		.amdhsa_exception_fp_ieee_div_zero 0
		.amdhsa_exception_fp_ieee_overflow 0
		.amdhsa_exception_fp_ieee_underflow 0
		.amdhsa_exception_fp_ieee_inexact 0
		.amdhsa_exception_int_div_zero 0
	.end_amdhsa_kernel
	.text
.Lfunc_end0:
	.size	fft_rtc_back_len50_factors_10_5_wgs_125_tpt_5_halfLds_dim1_dp_op_CI_CI_unitstride_sbrr_R2C_dirReg, .Lfunc_end0-fft_rtc_back_len50_factors_10_5_wgs_125_tpt_5_halfLds_dim1_dp_op_CI_CI_unitstride_sbrr_R2C_dirReg
                                        ; -- End function
	.section	.AMDGPU.csdata,"",@progbits
; Kernel info:
; codeLenInByte = 5108
; NumSgprs: 26
; NumVgprs: 78
; ScratchSize: 0
; MemoryBound: 0
; FloatMode: 240
; IeeeMode: 1
; LDSByteSize: 0 bytes/workgroup (compile time only)
; SGPRBlocks: 3
; VGPRBlocks: 19
; NumSGPRsForWavesPerEU: 26
; NumVGPRsForWavesPerEU: 78
; Occupancy: 3
; WaveLimiterHint : 1
; COMPUTE_PGM_RSRC2:SCRATCH_EN: 0
; COMPUTE_PGM_RSRC2:USER_SGPR: 6
; COMPUTE_PGM_RSRC2:TRAP_HANDLER: 0
; COMPUTE_PGM_RSRC2:TGID_X_EN: 1
; COMPUTE_PGM_RSRC2:TGID_Y_EN: 0
; COMPUTE_PGM_RSRC2:TGID_Z_EN: 0
; COMPUTE_PGM_RSRC2:TIDIG_COMP_CNT: 0
	.type	__hip_cuid_11962140132c62d7,@object ; @__hip_cuid_11962140132c62d7
	.section	.bss,"aw",@nobits
	.globl	__hip_cuid_11962140132c62d7
__hip_cuid_11962140132c62d7:
	.byte	0                               ; 0x0
	.size	__hip_cuid_11962140132c62d7, 1

	.ident	"AMD clang version 19.0.0git (https://github.com/RadeonOpenCompute/llvm-project roc-6.4.0 25133 c7fe45cf4b819c5991fe208aaa96edf142730f1d)"
	.section	".note.GNU-stack","",@progbits
	.addrsig
	.addrsig_sym __hip_cuid_11962140132c62d7
	.amdgpu_metadata
---
amdhsa.kernels:
  - .args:
      - .actual_access:  read_only
        .address_space:  global
        .offset:         0
        .size:           8
        .value_kind:     global_buffer
      - .actual_access:  read_only
        .address_space:  global
        .offset:         8
        .size:           8
        .value_kind:     global_buffer
      - .actual_access:  read_only
        .address_space:  global
        .offset:         16
        .size:           8
        .value_kind:     global_buffer
      - .actual_access:  read_only
        .address_space:  global
        .offset:         24
        .size:           8
        .value_kind:     global_buffer
      - .offset:         32
        .size:           8
        .value_kind:     by_value
      - .actual_access:  read_only
        .address_space:  global
        .offset:         40
        .size:           8
        .value_kind:     global_buffer
      - .actual_access:  read_only
        .address_space:  global
        .offset:         48
        .size:           8
        .value_kind:     global_buffer
      - .offset:         56
        .size:           4
        .value_kind:     by_value
      - .actual_access:  read_only
        .address_space:  global
        .offset:         64
        .size:           8
        .value_kind:     global_buffer
      - .actual_access:  read_only
        .address_space:  global
        .offset:         72
        .size:           8
        .value_kind:     global_buffer
      - .actual_access:  read_only
        .address_space:  global
        .offset:         80
        .size:           8
        .value_kind:     global_buffer
      - .actual_access:  write_only
        .address_space:  global
        .offset:         88
        .size:           8
        .value_kind:     global_buffer
    .group_segment_fixed_size: 0
    .kernarg_segment_align: 8
    .kernarg_segment_size: 96
    .language:       OpenCL C
    .language_version:
      - 2
      - 0
    .max_flat_workgroup_size: 125
    .name:           fft_rtc_back_len50_factors_10_5_wgs_125_tpt_5_halfLds_dim1_dp_op_CI_CI_unitstride_sbrr_R2C_dirReg
    .private_segment_fixed_size: 0
    .sgpr_count:     26
    .sgpr_spill_count: 0
    .symbol:         fft_rtc_back_len50_factors_10_5_wgs_125_tpt_5_halfLds_dim1_dp_op_CI_CI_unitstride_sbrr_R2C_dirReg.kd
    .uniform_work_group_size: 1
    .uses_dynamic_stack: false
    .vgpr_count:     78
    .vgpr_spill_count: 0
    .wavefront_size: 64
amdhsa.target:   amdgcn-amd-amdhsa--gfx906
amdhsa.version:
  - 1
  - 2
...

	.end_amdgpu_metadata
